;; amdgpu-corpus repo=ROCm/rocFFT kind=compiled arch=gfx1100 opt=O3
	.text
	.amdgcn_target "amdgcn-amd-amdhsa--gfx1100"
	.amdhsa_code_object_version 6
	.protected	fft_rtc_back_len1936_factors_2_2_4_11_11_wgs_176_tpt_176_dp_op_CI_CI_sbrr_dirReg ; -- Begin function fft_rtc_back_len1936_factors_2_2_4_11_11_wgs_176_tpt_176_dp_op_CI_CI_sbrr_dirReg
	.globl	fft_rtc_back_len1936_factors_2_2_4_11_11_wgs_176_tpt_176_dp_op_CI_CI_sbrr_dirReg
	.p2align	8
	.type	fft_rtc_back_len1936_factors_2_2_4_11_11_wgs_176_tpt_176_dp_op_CI_CI_sbrr_dirReg,@function
fft_rtc_back_len1936_factors_2_2_4_11_11_wgs_176_tpt_176_dp_op_CI_CI_sbrr_dirReg: ; @fft_rtc_back_len1936_factors_2_2_4_11_11_wgs_176_tpt_176_dp_op_CI_CI_sbrr_dirReg
; %bb.0:
	s_clause 0x2
	s_load_b128 s[16:19], s[0:1], 0x18
	s_load_b128 s[8:11], s[0:1], 0x0
	;; [unrolled: 1-line block ×3, first 2 shown]
	v_mul_u32_u24_e32 v1, 0x175, v0
	v_mov_b32_e32 v4, 0
	v_mov_b32_e32 v5, 0
	s_waitcnt lgkmcnt(0)
	s_load_b64 s[20:21], s[16:17], 0x0
	s_load_b64 s[12:13], s[18:19], 0x0
	v_lshrrev_b32_e32 v2, 16, v1
	v_mov_b32_e32 v1, 0
	v_cmp_lt_u64_e64 s2, s[10:11], 2
	s_delay_alu instid0(VALU_DEP_2) | instskip(NEXT) | instid1(VALU_DEP_2)
	v_dual_mov_b32 v7, v1 :: v_dual_add_nc_u32 v6, s15, v2
	s_and_b32 vcc_lo, exec_lo, s2
	s_cbranch_vccnz .LBB0_8
; %bb.1:
	s_load_b64 s[2:3], s[0:1], 0x10
	v_mov_b32_e32 v4, 0
	v_mov_b32_e32 v5, 0
	s_add_u32 s14, s18, 8
	s_addc_u32 s15, s19, 0
	s_add_u32 s22, s16, 8
	s_addc_u32 s23, s17, 0
	v_dual_mov_b32 v61, v5 :: v_dual_mov_b32 v60, v4
	s_mov_b64 s[26:27], 1
	s_waitcnt lgkmcnt(0)
	s_add_u32 s24, s2, 8
	s_addc_u32 s25, s3, 0
.LBB0_2:                                ; =>This Inner Loop Header: Depth=1
	s_load_b64 s[28:29], s[24:25], 0x0
                                        ; implicit-def: $vgpr62_vgpr63
	s_mov_b32 s2, exec_lo
	s_waitcnt lgkmcnt(0)
	v_or_b32_e32 v2, s29, v7
	s_delay_alu instid0(VALU_DEP_1)
	v_cmpx_ne_u64_e32 0, v[1:2]
	s_xor_b32 s3, exec_lo, s2
	s_cbranch_execz .LBB0_4
; %bb.3:                                ;   in Loop: Header=BB0_2 Depth=1
	v_cvt_f32_u32_e32 v2, s28
	v_cvt_f32_u32_e32 v3, s29
	s_sub_u32 s2, 0, s28
	s_subb_u32 s30, 0, s29
	s_delay_alu instid0(VALU_DEP_1) | instskip(NEXT) | instid1(VALU_DEP_1)
	v_fmac_f32_e32 v2, 0x4f800000, v3
	v_rcp_f32_e32 v2, v2
	s_waitcnt_depctr 0xfff
	v_mul_f32_e32 v2, 0x5f7ffffc, v2
	s_delay_alu instid0(VALU_DEP_1) | instskip(NEXT) | instid1(VALU_DEP_1)
	v_mul_f32_e32 v3, 0x2f800000, v2
	v_trunc_f32_e32 v3, v3
	s_delay_alu instid0(VALU_DEP_1) | instskip(SKIP_1) | instid1(VALU_DEP_2)
	v_fmac_f32_e32 v2, 0xcf800000, v3
	v_cvt_u32_f32_e32 v3, v3
	v_cvt_u32_f32_e32 v2, v2
	s_delay_alu instid0(VALU_DEP_2) | instskip(NEXT) | instid1(VALU_DEP_2)
	v_mul_lo_u32 v8, s2, v3
	v_mul_hi_u32 v9, s2, v2
	v_mul_lo_u32 v10, s30, v2
	s_delay_alu instid0(VALU_DEP_2) | instskip(SKIP_1) | instid1(VALU_DEP_2)
	v_add_nc_u32_e32 v8, v9, v8
	v_mul_lo_u32 v9, s2, v2
	v_add_nc_u32_e32 v8, v8, v10
	s_delay_alu instid0(VALU_DEP_2) | instskip(NEXT) | instid1(VALU_DEP_2)
	v_mul_hi_u32 v10, v2, v9
	v_mul_lo_u32 v11, v2, v8
	v_mul_hi_u32 v12, v2, v8
	v_mul_hi_u32 v13, v3, v9
	v_mul_lo_u32 v9, v3, v9
	v_mul_hi_u32 v14, v3, v8
	v_mul_lo_u32 v8, v3, v8
	v_add_co_u32 v10, vcc_lo, v10, v11
	v_add_co_ci_u32_e32 v11, vcc_lo, 0, v12, vcc_lo
	s_delay_alu instid0(VALU_DEP_2) | instskip(NEXT) | instid1(VALU_DEP_2)
	v_add_co_u32 v9, vcc_lo, v10, v9
	v_add_co_ci_u32_e32 v9, vcc_lo, v11, v13, vcc_lo
	v_add_co_ci_u32_e32 v10, vcc_lo, 0, v14, vcc_lo
	s_delay_alu instid0(VALU_DEP_2) | instskip(NEXT) | instid1(VALU_DEP_2)
	v_add_co_u32 v8, vcc_lo, v9, v8
	v_add_co_ci_u32_e32 v9, vcc_lo, 0, v10, vcc_lo
	s_delay_alu instid0(VALU_DEP_2) | instskip(NEXT) | instid1(VALU_DEP_2)
	v_add_co_u32 v2, vcc_lo, v2, v8
	v_add_co_ci_u32_e32 v3, vcc_lo, v3, v9, vcc_lo
	s_delay_alu instid0(VALU_DEP_2) | instskip(SKIP_1) | instid1(VALU_DEP_3)
	v_mul_hi_u32 v8, s2, v2
	v_mul_lo_u32 v10, s30, v2
	v_mul_lo_u32 v9, s2, v3
	s_delay_alu instid0(VALU_DEP_1) | instskip(SKIP_1) | instid1(VALU_DEP_2)
	v_add_nc_u32_e32 v8, v8, v9
	v_mul_lo_u32 v9, s2, v2
	v_add_nc_u32_e32 v8, v8, v10
	s_delay_alu instid0(VALU_DEP_2) | instskip(NEXT) | instid1(VALU_DEP_2)
	v_mul_hi_u32 v10, v2, v9
	v_mul_lo_u32 v11, v2, v8
	v_mul_hi_u32 v12, v2, v8
	v_mul_hi_u32 v13, v3, v9
	v_mul_lo_u32 v9, v3, v9
	v_mul_hi_u32 v14, v3, v8
	v_mul_lo_u32 v8, v3, v8
	v_add_co_u32 v10, vcc_lo, v10, v11
	v_add_co_ci_u32_e32 v11, vcc_lo, 0, v12, vcc_lo
	s_delay_alu instid0(VALU_DEP_2) | instskip(NEXT) | instid1(VALU_DEP_2)
	v_add_co_u32 v9, vcc_lo, v10, v9
	v_add_co_ci_u32_e32 v9, vcc_lo, v11, v13, vcc_lo
	v_add_co_ci_u32_e32 v10, vcc_lo, 0, v14, vcc_lo
	s_delay_alu instid0(VALU_DEP_2) | instskip(NEXT) | instid1(VALU_DEP_2)
	v_add_co_u32 v8, vcc_lo, v9, v8
	v_add_co_ci_u32_e32 v9, vcc_lo, 0, v10, vcc_lo
	s_delay_alu instid0(VALU_DEP_2) | instskip(NEXT) | instid1(VALU_DEP_2)
	v_add_co_u32 v10, vcc_lo, v2, v8
	v_add_co_ci_u32_e32 v12, vcc_lo, v3, v9, vcc_lo
	s_delay_alu instid0(VALU_DEP_2) | instskip(SKIP_1) | instid1(VALU_DEP_3)
	v_mul_hi_u32 v13, v6, v10
	v_mad_u64_u32 v[8:9], null, v7, v10, 0
	v_mad_u64_u32 v[2:3], null, v6, v12, 0
	;; [unrolled: 1-line block ×3, first 2 shown]
	s_delay_alu instid0(VALU_DEP_2) | instskip(NEXT) | instid1(VALU_DEP_3)
	v_add_co_u32 v2, vcc_lo, v13, v2
	v_add_co_ci_u32_e32 v3, vcc_lo, 0, v3, vcc_lo
	s_delay_alu instid0(VALU_DEP_2) | instskip(NEXT) | instid1(VALU_DEP_2)
	v_add_co_u32 v2, vcc_lo, v2, v8
	v_add_co_ci_u32_e32 v2, vcc_lo, v3, v9, vcc_lo
	v_add_co_ci_u32_e32 v3, vcc_lo, 0, v11, vcc_lo
	s_delay_alu instid0(VALU_DEP_2) | instskip(NEXT) | instid1(VALU_DEP_2)
	v_add_co_u32 v8, vcc_lo, v2, v10
	v_add_co_ci_u32_e32 v9, vcc_lo, 0, v3, vcc_lo
	s_delay_alu instid0(VALU_DEP_2) | instskip(SKIP_1) | instid1(VALU_DEP_3)
	v_mul_lo_u32 v10, s29, v8
	v_mad_u64_u32 v[2:3], null, s28, v8, 0
	v_mul_lo_u32 v11, s28, v9
	s_delay_alu instid0(VALU_DEP_2) | instskip(NEXT) | instid1(VALU_DEP_2)
	v_sub_co_u32 v2, vcc_lo, v6, v2
	v_add3_u32 v3, v3, v11, v10
	s_delay_alu instid0(VALU_DEP_1) | instskip(NEXT) | instid1(VALU_DEP_1)
	v_sub_nc_u32_e32 v10, v7, v3
	v_subrev_co_ci_u32_e64 v10, s2, s29, v10, vcc_lo
	v_add_co_u32 v11, s2, v8, 2
	s_delay_alu instid0(VALU_DEP_1) | instskip(SKIP_3) | instid1(VALU_DEP_3)
	v_add_co_ci_u32_e64 v12, s2, 0, v9, s2
	v_sub_co_u32 v13, s2, v2, s28
	v_sub_co_ci_u32_e32 v3, vcc_lo, v7, v3, vcc_lo
	v_subrev_co_ci_u32_e64 v10, s2, 0, v10, s2
	v_cmp_le_u32_e32 vcc_lo, s28, v13
	s_delay_alu instid0(VALU_DEP_3) | instskip(SKIP_1) | instid1(VALU_DEP_4)
	v_cmp_eq_u32_e64 s2, s29, v3
	v_cndmask_b32_e64 v13, 0, -1, vcc_lo
	v_cmp_le_u32_e32 vcc_lo, s29, v10
	v_cndmask_b32_e64 v14, 0, -1, vcc_lo
	v_cmp_le_u32_e32 vcc_lo, s28, v2
	;; [unrolled: 2-line block ×3, first 2 shown]
	v_cndmask_b32_e64 v15, 0, -1, vcc_lo
	v_cmp_eq_u32_e32 vcc_lo, s29, v10
	s_delay_alu instid0(VALU_DEP_2) | instskip(SKIP_3) | instid1(VALU_DEP_3)
	v_cndmask_b32_e64 v2, v15, v2, s2
	v_cndmask_b32_e32 v10, v14, v13, vcc_lo
	v_add_co_u32 v13, vcc_lo, v8, 1
	v_add_co_ci_u32_e32 v14, vcc_lo, 0, v9, vcc_lo
	v_cmp_ne_u32_e32 vcc_lo, 0, v10
	s_delay_alu instid0(VALU_DEP_2) | instskip(SKIP_1) | instid1(VALU_DEP_2)
	v_dual_cndmask_b32 v3, v14, v12 :: v_dual_cndmask_b32 v10, v13, v11
	v_cmp_ne_u32_e32 vcc_lo, 0, v2
	v_dual_cndmask_b32 v63, v9, v3 :: v_dual_cndmask_b32 v62, v8, v10
.LBB0_4:                                ;   in Loop: Header=BB0_2 Depth=1
	s_and_not1_saveexec_b32 s2, s3
	s_cbranch_execz .LBB0_6
; %bb.5:                                ;   in Loop: Header=BB0_2 Depth=1
	v_cvt_f32_u32_e32 v2, s28
	s_sub_i32 s3, 0, s28
	v_mov_b32_e32 v63, v1
	s_delay_alu instid0(VALU_DEP_2) | instskip(SKIP_2) | instid1(VALU_DEP_1)
	v_rcp_iflag_f32_e32 v2, v2
	s_waitcnt_depctr 0xfff
	v_mul_f32_e32 v2, 0x4f7ffffe, v2
	v_cvt_u32_f32_e32 v2, v2
	s_delay_alu instid0(VALU_DEP_1) | instskip(NEXT) | instid1(VALU_DEP_1)
	v_mul_lo_u32 v3, s3, v2
	v_mul_hi_u32 v3, v2, v3
	s_delay_alu instid0(VALU_DEP_1) | instskip(NEXT) | instid1(VALU_DEP_1)
	v_add_nc_u32_e32 v2, v2, v3
	v_mul_hi_u32 v2, v6, v2
	s_delay_alu instid0(VALU_DEP_1) | instskip(SKIP_1) | instid1(VALU_DEP_2)
	v_mul_lo_u32 v3, v2, s28
	v_add_nc_u32_e32 v8, 1, v2
	v_sub_nc_u32_e32 v3, v6, v3
	s_delay_alu instid0(VALU_DEP_1) | instskip(SKIP_1) | instid1(VALU_DEP_2)
	v_subrev_nc_u32_e32 v9, s28, v3
	v_cmp_le_u32_e32 vcc_lo, s28, v3
	v_dual_cndmask_b32 v3, v3, v9 :: v_dual_cndmask_b32 v2, v2, v8
	s_delay_alu instid0(VALU_DEP_1) | instskip(NEXT) | instid1(VALU_DEP_2)
	v_cmp_le_u32_e32 vcc_lo, s28, v3
	v_add_nc_u32_e32 v8, 1, v2
	s_delay_alu instid0(VALU_DEP_1)
	v_cndmask_b32_e32 v62, v2, v8, vcc_lo
.LBB0_6:                                ;   in Loop: Header=BB0_2 Depth=1
	s_or_b32 exec_lo, exec_lo, s2
	s_delay_alu instid0(VALU_DEP_1) | instskip(NEXT) | instid1(VALU_DEP_2)
	v_mul_lo_u32 v8, v63, s28
	v_mul_lo_u32 v9, v62, s29
	s_load_b64 s[2:3], s[22:23], 0x0
	v_mad_u64_u32 v[2:3], null, v62, s28, 0
	s_load_b64 s[28:29], s[14:15], 0x0
	s_add_u32 s26, s26, 1
	s_addc_u32 s27, s27, 0
	s_add_u32 s14, s14, 8
	s_addc_u32 s15, s15, 0
	s_add_u32 s22, s22, 8
	s_delay_alu instid0(VALU_DEP_1) | instskip(SKIP_3) | instid1(VALU_DEP_2)
	v_add3_u32 v3, v3, v9, v8
	v_sub_co_u32 v8, vcc_lo, v6, v2
	s_addc_u32 s23, s23, 0
	s_add_u32 s24, s24, 8
	v_sub_co_ci_u32_e32 v6, vcc_lo, v7, v3, vcc_lo
	s_addc_u32 s25, s25, 0
	s_waitcnt lgkmcnt(0)
	s_delay_alu instid0(VALU_DEP_1)
	v_mul_lo_u32 v9, s2, v6
	v_mul_lo_u32 v10, s3, v8
	v_mad_u64_u32 v[2:3], null, s2, v8, v[4:5]
	v_mul_lo_u32 v11, s28, v6
	v_mul_lo_u32 v12, s29, v8
	v_mad_u64_u32 v[6:7], null, s28, v8, v[60:61]
	v_cmp_ge_u64_e64 s2, s[26:27], s[10:11]
	v_add3_u32 v5, v10, v3, v9
	v_mov_b32_e32 v4, v2
	s_delay_alu instid0(VALU_DEP_4)
	v_add3_u32 v61, v12, v7, v11
	v_mov_b32_e32 v60, v6
	s_and_b32 vcc_lo, exec_lo, s2
	s_cbranch_vccnz .LBB0_9
; %bb.7:                                ;   in Loop: Header=BB0_2 Depth=1
	v_dual_mov_b32 v6, v62 :: v_dual_mov_b32 v7, v63
	s_branch .LBB0_2
.LBB0_8:
	v_dual_mov_b32 v61, v5 :: v_dual_mov_b32 v60, v4
	s_delay_alu instid0(VALU_DEP_2)
	v_dual_mov_b32 v63, v7 :: v_dual_mov_b32 v62, v6
.LBB0_9:
	s_load_b64 s[0:1], s[0:1], 0x28
	v_mul_hi_u32 v1, 0x1745d18, v0
	s_lshl_b64 s[10:11], s[10:11], 3
                                        ; implicit-def: $sgpr14
                                        ; implicit-def: $vgpr66
                                        ; implicit-def: $vgpr70
                                        ; implicit-def: $vgpr69
                                        ; implicit-def: $vgpr48
                                        ; implicit-def: $vgpr49
	s_delay_alu instid0(SALU_CYCLE_1) | instskip(SKIP_4) | instid1(VALU_DEP_1)
	s_add_u32 s2, s18, s10
	s_addc_u32 s3, s19, s11
	s_waitcnt lgkmcnt(0)
	v_cmp_gt_u64_e32 vcc_lo, s[0:1], v[62:63]
	v_cmp_le_u64_e64 s0, s[0:1], v[62:63]
	s_and_saveexec_b32 s1, s0
	s_delay_alu instid0(SALU_CYCLE_1)
	s_xor_b32 s0, exec_lo, s1
; %bb.10:
	v_mul_u32_u24_e32 v1, 0xb0, v1
	s_mov_b32 s14, 0
                                        ; implicit-def: $vgpr4_vgpr5
	s_delay_alu instid0(VALU_DEP_1) | instskip(NEXT) | instid1(VALU_DEP_1)
	v_sub_nc_u32_e32 v66, v0, v1
                                        ; implicit-def: $vgpr1
                                        ; implicit-def: $vgpr0
	v_add_nc_u32_e32 v70, 0xb0, v66
	v_add_nc_u32_e32 v69, 0x160, v66
	v_add_nc_u32_e32 v48, 0x210, v66
	v_add_nc_u32_e32 v49, 0x2c0, v66
; %bb.11:
	s_or_saveexec_b32 s1, s0
	s_load_b64 s[2:3], s[2:3], 0x0
	v_mov_b32_e32 v64, s14
                                        ; implicit-def: $vgpr10_vgpr11
                                        ; implicit-def: $vgpr6_vgpr7
                                        ; implicit-def: $vgpr38_vgpr39
                                        ; implicit-def: $vgpr18_vgpr19
                                        ; implicit-def: $vgpr30_vgpr31
                                        ; implicit-def: $vgpr42_vgpr43
                                        ; implicit-def: $vgpr46_vgpr47
                                        ; implicit-def: $vgpr22_vgpr23
                                        ; implicit-def: $vgpr34_vgpr35
                                        ; implicit-def: $vgpr26_vgpr27
                                        ; implicit-def: $vgpr14_vgpr15
                                        ; implicit-def: $vgpr2_vgpr3
	s_xor_b32 exec_lo, exec_lo, s1
	s_cbranch_execz .LBB0_15
; %bb.12:
	v_mul_u32_u24_e32 v1, 0xb0, v1
	s_add_u32 s10, s16, s10
	s_addc_u32 s11, s17, s11
	v_lshlrev_b64 v[4:5], 4, v[4:5]
	s_load_b64 s[10:11], s[10:11], 0x0
	v_sub_nc_u32_e32 v66, v0, v1
                                        ; implicit-def: $vgpr44_vgpr45
                                        ; implicit-def: $vgpr40_vgpr41
	s_delay_alu instid0(VALU_DEP_1) | instskip(SKIP_3) | instid1(VALU_DEP_4)
	v_add_nc_u32_e32 v15, 0x3c8, v66
	v_mad_u64_u32 v[0:1], null, s20, v66, 0
	v_add_nc_u32_e32 v24, 0x528, v66
	v_add_nc_u32_e32 v48, 0x210, v66
	v_mad_u64_u32 v[2:3], null, s20, v15, 0
	v_add_nc_u32_e32 v70, 0xb0, v66
	s_delay_alu instid0(VALU_DEP_4)
	v_mad_u64_u32 v[18:19], null, s20, v24, 0
	v_add_nc_u32_e32 v69, 0x160, v66
	v_mad_u64_u32 v[20:21], null, s20, v48, 0
	v_mad_u64_u32 v[10:11], null, s21, v66, v[1:2]
	v_mov_b32_e32 v1, v3
	v_mad_u64_u32 v[6:7], null, s20, v70, 0
	v_add_nc_u32_e32 v16, 0x478, v66
	s_waitcnt lgkmcnt(0)
	v_mul_lo_u32 v14, s11, v62
	v_mul_lo_u32 v17, s10, v63
	v_mad_u64_u32 v[8:9], null, s10, v62, 0
	v_dual_mov_b32 v3, v7 :: v_dual_add_nc_u32 v30, 0x5d8, v66
	v_mad_u64_u32 v[12:13], null, s20, v16, 0
	v_add_nc_u32_e32 v32, 0x688, v66
	s_delay_alu instid0(VALU_DEP_4) | instskip(NEXT) | instid1(VALU_DEP_3)
	v_add3_u32 v9, v9, v17, v14
	v_mov_b32_e32 v7, v13
	v_mad_u64_u32 v[13:14], null, s21, v15, v[1:2]
	s_delay_alu instid0(VALU_DEP_3) | instskip(SKIP_2) | instid1(VALU_DEP_3)
	v_lshlrev_b64 v[8:9], 4, v[8:9]
	v_mov_b32_e32 v1, v10
	v_mad_u64_u32 v[10:11], null, s21, v70, v[3:4]
	v_mad_u64_u32 v[14:15], null, s21, v16, v[7:8]
	v_add_co_u32 v8, s0, s4, v8
	v_mov_b32_e32 v3, v13
	v_add_co_ci_u32_e64 v9, s0, s5, v9, s0
	v_lshlrev_b64 v[0:1], 4, v[0:1]
	s_delay_alu instid0(VALU_DEP_4) | instskip(NEXT) | instid1(VALU_DEP_1)
	v_add_co_u32 v42, s0, v8, v4
	v_add_co_ci_u32_e64 v43, s0, v9, v5, s0
	v_lshlrev_b64 v[2:3], 4, v[2:3]
	v_mov_b32_e32 v7, v10
	s_delay_alu instid0(VALU_DEP_4)
	v_add_co_u32 v0, s0, v42, v0
	v_mad_u64_u32 v[16:17], null, s20, v69, 0
	v_add_co_ci_u32_e64 v1, s0, v43, v1, s0
	v_add_co_u32 v4, s0, v42, v2
	v_lshlrev_b64 v[6:7], 4, v[6:7]
	v_add_co_ci_u32_e64 v5, s0, v43, v3, s0
	s_clause 0x1
	global_load_b128 v[0:3], v[0:1], off
	global_load_b128 v[8:11], v[4:5], off
	v_add_co_u32 v4, s0, v42, v6
	v_dual_mov_b32 v6, v17 :: v_dual_mov_b32 v13, v14
	v_add_co_ci_u32_e64 v5, s0, v43, v7, s0
	s_mov_b32 s4, exec_lo
	s_delay_alu instid0(VALU_DEP_2) | instskip(SKIP_1) | instid1(VALU_DEP_1)
	v_mad_u64_u32 v[14:15], null, s21, v69, v[6:7]
	v_mov_b32_e32 v6, v19
	v_mad_u64_u32 v[22:23], null, s21, v24, v[6:7]
	v_mad_u64_u32 v[23:24], null, s20, v30, 0
	s_delay_alu instid0(VALU_DEP_2) | instskip(NEXT) | instid1(VALU_DEP_2)
	v_mad_u64_u32 v[25:26], null, s21, v48, v[21:22]
	v_mov_b32_e32 v21, v24
	v_mov_b32_e32 v19, v22
	s_delay_alu instid0(VALU_DEP_2)
	v_mad_u64_u32 v[28:29], null, s21, v30, v[21:22]
	v_mad_u64_u32 v[29:30], null, s20, v32, 0
	v_add_nc_u32_e32 v49, 0x2c0, v66
	v_mov_b32_e32 v17, v14
	v_mov_b32_e32 v21, v25
	v_lshlrev_b64 v[18:19], 4, v[18:19]
	v_mov_b32_e32 v24, v28
	v_mad_u64_u32 v[26:27], null, s20, v49, 0
	v_lshlrev_b64 v[16:17], 4, v[16:17]
	v_lshlrev_b64 v[20:21], 4, v[20:21]
	s_delay_alu instid0(VALU_DEP_3) | instskip(SKIP_1) | instid1(VALU_DEP_2)
	v_mov_b32_e32 v22, v27
	v_lshlrev_b64 v[12:13], 4, v[12:13]
	v_mad_u64_u32 v[27:28], null, s21, v49, v[22:23]
	v_mov_b32_e32 v22, v30
	s_delay_alu instid0(VALU_DEP_3) | instskip(NEXT) | instid1(VALU_DEP_1)
	v_add_co_u32 v12, s0, v42, v12
	v_add_co_ci_u32_e64 v13, s0, v43, v13, s0
	v_add_co_u32 v16, s0, v42, v16
	s_delay_alu instid0(VALU_DEP_4)
	v_mad_u64_u32 v[30:31], null, s21, v32, v[22:23]
	v_add_co_ci_u32_e64 v17, s0, v43, v17, s0
	v_add_co_u32 v18, s0, v42, v18
	v_lshlrev_b64 v[22:23], 4, v[23:24]
	v_add_co_ci_u32_e64 v19, s0, v43, v19, s0
	v_add_co_u32 v20, s0, v42, v20
	v_lshlrev_b64 v[24:25], 4, v[26:27]
	;; [unrolled: 3-line block ×3, first 2 shown]
	v_add_co_ci_u32_e64 v23, s0, v43, v23, s0
	v_add_co_u32 v28, s0, v42, v24
	s_delay_alu instid0(VALU_DEP_1) | instskip(NEXT) | instid1(VALU_DEP_4)
	v_add_co_ci_u32_e64 v29, s0, v43, v25, s0
	v_add_co_u32 v30, s0, v42, v26
	s_delay_alu instid0(VALU_DEP_1)
	v_add_co_ci_u32_e64 v31, s0, v43, v27, s0
	s_clause 0x7
	global_load_b128 v[4:7], v[4:5], off
	global_load_b128 v[12:15], v[12:13], off
	;; [unrolled: 1-line block ×8, first 2 shown]
	v_cmpx_gt_u32_e32 0x58, v66
	s_cbranch_execz .LBB0_14
; %bb.13:
	v_add_nc_u32_e32 v50, 0x370, v66
	v_add_nc_u32_e32 v52, 0x738, v66
	s_delay_alu instid0(VALU_DEP_2) | instskip(NEXT) | instid1(VALU_DEP_2)
	v_mad_u64_u32 v[40:41], null, s20, v50, 0
	v_mad_u64_u32 v[44:45], null, s20, v52, 0
	s_delay_alu instid0(VALU_DEP_2) | instskip(NEXT) | instid1(VALU_DEP_1)
	v_mad_u64_u32 v[46:47], null, s21, v50, v[41:42]
	v_mad_u64_u32 v[50:51], null, s21, v52, v[45:46]
	v_mov_b32_e32 v41, v46
	s_delay_alu instid0(VALU_DEP_1) | instskip(NEXT) | instid1(VALU_DEP_3)
	v_lshlrev_b64 v[40:41], 4, v[40:41]
	v_mov_b32_e32 v45, v50
	s_delay_alu instid0(VALU_DEP_2) | instskip(NEXT) | instid1(VALU_DEP_2)
	v_add_co_u32 v40, s0, v42, v40
	v_lshlrev_b64 v[44:45], 4, v[44:45]
	s_delay_alu instid0(VALU_DEP_4) | instskip(NEXT) | instid1(VALU_DEP_2)
	v_add_co_ci_u32_e64 v41, s0, v43, v41, s0
	v_add_co_u32 v44, s0, v42, v44
	s_delay_alu instid0(VALU_DEP_1)
	v_add_co_ci_u32_e64 v45, s0, v43, v45, s0
	s_clause 0x1
	global_load_b128 v[40:43], v[40:41], off
	global_load_b128 v[44:47], v[44:45], off
.LBB0_14:
	s_or_b32 exec_lo, exec_lo, s4
	v_mov_b32_e32 v64, v66
.LBB0_15:
	s_or_b32 exec_lo, exec_lo, s1
	s_waitcnt vmcnt(8)
	v_add_f64 v[52:53], v[0:1], -v[8:9]
	v_add_f64 v[54:55], v[2:3], -v[10:11]
	s_waitcnt vmcnt(0)
	v_add_f64 v[8:9], v[40:41], -v[44:45]
	v_add_f64 v[10:11], v[42:43], -v[46:47]
	;; [unrolled: 1-line block ×10, first 2 shown]
	v_lshl_add_u32 v58, v66, 5, 0
	v_lshl_add_u32 v50, v70, 5, 0
	;; [unrolled: 1-line block ×5, first 2 shown]
	v_add_nc_u32_e32 v51, 0x370, v66
	v_cmp_gt_u32_e64 s0, 0x58, v66
	v_fma_f64 v[0:1], v[0:1], 2.0, -v[52:53]
	v_fma_f64 v[2:3], v[2:3], 2.0, -v[54:55]
	;; [unrolled: 1-line block ×12, first 2 shown]
	ds_store_b128 v58, v[0:3]
	ds_store_b128 v58, v[52:55] offset:16
	ds_store_b128 v50, v[4:7]
	ds_store_b128 v50, v[73:76] offset:16
	;; [unrolled: 2-line block ×5, first 2 shown]
	s_and_saveexec_b32 s1, s0
	s_cbranch_execz .LBB0_17
; %bb.16:
	v_lshl_add_u32 v0, v51, 5, 0
	ds_store_b128 v0, v[12:15]
	ds_store_b128 v0, v[8:11] offset:16
.LBB0_17:
	s_or_b32 exec_lo, exec_lo, s1
	v_lshlrev_b32_e32 v52, 4, v66
	v_lshlrev_b32_e32 v53, 4, v70
	;; [unrolled: 1-line block ×5, first 2 shown]
	v_sub_nc_u32_e32 v36, v58, v52
	v_sub_nc_u32_e32 v16, v50, v53
	;; [unrolled: 1-line block ×5, first 2 shown]
	s_waitcnt lgkmcnt(0)
	s_barrier
	buffer_gl0_inv
	ds_load_b128 v[0:3], v36
	ds_load_b128 v[4:7], v36 offset:15488
	ds_load_b128 v[24:27], v16
	ds_load_b128 v[16:19], v17
	ds_load_b128 v[40:43], v36 offset:18304
	ds_load_b128 v[32:35], v36 offset:21120
	ds_load_b128 v[28:31], v20
	ds_load_b128 v[20:23], v21
	ds_load_b128 v[44:47], v36 offset:23936
	ds_load_b128 v[36:39], v36 offset:26752
	v_sub_nc_u32_e32 v59, 0, v52
	v_lshlrev_b32_e32 v57, 1, v66
	v_lshlrev_b32_e32 v56, 1, v70
	;; [unrolled: 1-line block ×5, first 2 shown]
	v_add_nc_u32_e32 v65, v58, v59
	s_and_saveexec_b32 s1, s0
	s_cbranch_execz .LBB0_19
; %bb.18:
	ds_load_b128 v[12:15], v65 offset:14080
	ds_load_b128 v[8:11], v65 offset:29568
.LBB0_19:
	s_or_b32 exec_lo, exec_lo, s1
	v_and_b32_e32 v49, 1, v66
	s_delay_alu instid0(VALU_DEP_1)
	v_lshlrev_b32_e32 v58, 4, v49
	global_load_b128 v[75:78], v58, s[8:9]
	s_waitcnt vmcnt(0) lgkmcnt(0)
	s_barrier
	buffer_gl0_inv
	v_mul_f64 v[58:59], v[6:7], v[77:78]
	v_mul_f64 v[79:80], v[4:5], v[77:78]
	;; [unrolled: 1-line block ×12, first 2 shown]
	v_fma_f64 v[4:5], v[4:5], v[75:76], v[58:59]
	v_fma_f64 v[6:7], v[6:7], v[75:76], -v[79:80]
	v_fma_f64 v[40:41], v[40:41], v[75:76], v[81:82]
	v_fma_f64 v[42:43], v[42:43], v[75:76], -v[83:84]
	;; [unrolled: 2-line block ×6, first 2 shown]
	v_add_f64 v[32:33], v[0:1], -v[4:5]
	v_add_f64 v[34:35], v[2:3], -v[6:7]
	;; [unrolled: 1-line block ×12, first 2 shown]
	v_fma_f64 v[75:76], v[0:1], 2.0, -v[32:33]
	v_fma_f64 v[77:78], v[2:3], 2.0, -v[34:35]
	;; [unrolled: 1-line block ×12, first 2 shown]
	v_and_or_b32 v17, 0x1fc, v57, v49
	v_and_or_b32 v18, 0x3fc, v56, v49
	;; [unrolled: 1-line block ×3, first 2 shown]
	v_sub_nc_u32_e32 v16, 0, v53
	v_sub_nc_u32_e32 v24, 0, v55
	v_and_or_b32 v20, 0x7fc, v52, v49
	v_and_or_b32 v21, 0x7fc, v48, v49
	v_lshl_add_u32 v17, v17, 4, 0
	v_lshl_add_u32 v18, v18, 4, 0
	;; [unrolled: 1-line block ×5, first 2 shown]
	ds_store_b128 v17, v[75:78]
	ds_store_b128 v17, v[32:35] offset:32
	ds_store_b128 v18, v[79:82]
	ds_store_b128 v18, v[36:39] offset:32
	;; [unrolled: 2-line block ×5, first 2 shown]
	s_and_saveexec_b32 s1, s0
	s_cbranch_execz .LBB0_21
; %bb.20:
	v_lshlrev_b32_e32 v17, 1, v51
	s_delay_alu instid0(VALU_DEP_1) | instskip(NEXT) | instid1(VALU_DEP_1)
	v_and_or_b32 v17, 0x7fc, v17, v49
	v_lshl_add_u32 v17, v17, 4, 0
	ds_store_b128 v17, v[12:15]
	ds_store_b128 v17, v[8:11] offset:32
.LBB0_21:
	s_or_b32 exec_lo, exec_lo, s1
	v_add_nc_u32_e32 v68, v50, v16
	s_waitcnt lgkmcnt(0)
	s_barrier
	buffer_gl0_inv
	ds_load_b128 v[20:23], v65
	ds_load_b128 v[16:19], v68
	ds_load_b128 v[48:51], v65 offset:7744
	ds_load_b128 v[36:39], v65 offset:10560
	;; [unrolled: 1-line block ×6, first 2 shown]
	v_cmp_gt_u32_e64 s0, 0x84, v66
	v_add_nc_u32_e32 v67, v67, v24
	s_delay_alu instid0(VALU_DEP_2)
	s_and_saveexec_b32 s1, s0
	s_cbranch_execz .LBB0_23
; %bb.22:
	ds_load_b128 v[0:3], v67
	ds_load_b128 v[4:7], v65 offset:13376
	ds_load_b128 v[12:15], v65 offset:21120
	;; [unrolled: 1-line block ×3, first 2 shown]
.LBB0_23:
	s_or_b32 exec_lo, exec_lo, s1
	v_and_b32_e32 v75, 3, v66
	s_delay_alu instid0(VALU_DEP_1) | instskip(NEXT) | instid1(VALU_DEP_1)
	v_mul_u32_u24_e32 v24, 3, v75
	v_lshlrev_b32_e32 v24, 4, v24
	s_clause 0x2
	global_load_b128 v[32:35], v24, s[8:9] offset:32
	global_load_b128 v[28:31], v24, s[8:9] offset:48
	;; [unrolled: 1-line block ×3, first 2 shown]
	s_waitcnt vmcnt(0) lgkmcnt(0)
	s_barrier
	buffer_gl0_inv
	v_mul_f64 v[76:77], v[50:51], v[34:35]
	v_mul_f64 v[78:79], v[48:49], v[34:35]
	;; [unrolled: 1-line block ×12, first 2 shown]
	v_fma_f64 v[48:49], v[48:49], v[32:33], v[76:77]
	v_fma_f64 v[50:51], v[50:51], v[32:33], -v[78:79]
	v_fma_f64 v[52:53], v[52:53], v[28:29], v[80:81]
	v_fma_f64 v[54:55], v[54:55], v[28:29], -v[82:83]
	v_fma_f64 v[56:57], v[56:57], v[24:25], v[84:85]
	v_fma_f64 v[58:59], v[58:59], v[24:25], -v[86:87]
	v_fma_f64 v[36:37], v[36:37], v[32:33], v[88:89]
	v_fma_f64 v[38:39], v[38:39], v[32:33], -v[90:91]
	v_fma_f64 v[40:41], v[40:41], v[28:29], v[92:93]
	v_fma_f64 v[42:43], v[42:43], v[28:29], -v[94:95]
	v_fma_f64 v[44:45], v[44:45], v[24:25], v[96:97]
	v_fma_f64 v[46:47], v[46:47], v[24:25], -v[98:99]
	v_add_f64 v[52:53], v[20:21], -v[52:53]
	v_add_f64 v[54:55], v[22:23], -v[54:55]
	;; [unrolled: 1-line block ×8, first 2 shown]
	v_fma_f64 v[82:83], v[20:21], 2.0, -v[52:53]
	v_fma_f64 v[22:23], v[22:23], 2.0, -v[54:55]
	;; [unrolled: 1-line block ×4, first 2 shown]
	v_add_f64 v[20:21], v[54:55], -v[56:57]
	v_fma_f64 v[16:17], v[16:17], 2.0, -v[76:77]
	v_fma_f64 v[84:85], v[18:19], 2.0, -v[80:81]
	;; [unrolled: 1-line block ×4, first 2 shown]
	v_add_f64 v[36:37], v[76:77], v[40:41]
	v_add_f64 v[18:19], v[52:53], v[58:59]
	v_add_f64 v[40:41], v[82:83], -v[42:43]
	v_add_f64 v[42:43], v[22:23], -v[44:45]
	v_fma_f64 v[50:51], v[54:55], 2.0, -v[20:21]
	v_add_f64 v[44:45], v[16:17], -v[46:47]
	v_add_f64 v[46:47], v[84:85], -v[38:39]
	;; [unrolled: 1-line block ×3, first 2 shown]
	v_fma_f64 v[48:49], v[52:53], 2.0, -v[18:19]
	v_fma_f64 v[52:53], v[76:77], 2.0, -v[36:37]
	;; [unrolled: 1-line block ×7, first 2 shown]
	v_lshlrev_b32_e32 v16, 2, v66
	v_lshlrev_b32_e32 v17, 2, v70
	s_delay_alu instid0(VALU_DEP_2) | instskip(NEXT) | instid1(VALU_DEP_2)
	v_and_or_b32 v22, 0x3f0, v16, v75
	v_and_or_b32 v23, 0x7f0, v17, v75
	v_sub_nc_u32_e32 v16, 0, v73
	v_sub_nc_u32_e32 v17, 0, v74
	s_delay_alu instid0(VALU_DEP_4) | instskip(NEXT) | instid1(VALU_DEP_4)
	v_lshl_add_u32 v22, v22, 4, 0
	v_lshl_add_u32 v23, v23, 4, 0
	ds_store_b128 v22, v[40:43] offset:128
	ds_store_b128 v22, v[18:21] offset:192
	ds_store_b128 v22, v[56:59]
	ds_store_b128 v22, v[48:51] offset:64
	ds_store_b128 v23, v[76:79]
	ds_store_b128 v23, v[52:55] offset:64
	ds_store_b128 v23, v[44:47] offset:128
	;; [unrolled: 1-line block ×3, first 2 shown]
	s_and_saveexec_b32 s1, s0
	s_cbranch_execz .LBB0_25
; %bb.24:
	v_mul_f64 v[18:19], v[12:13], v[30:31]
	v_mul_f64 v[20:21], v[6:7], v[34:35]
	;; [unrolled: 1-line block ×6, first 2 shown]
	v_fma_f64 v[14:15], v[14:15], v[28:29], -v[18:19]
	v_fma_f64 v[4:5], v[4:5], v[32:33], v[20:21]
	v_fma_f64 v[6:7], v[6:7], v[32:33], -v[22:23]
	v_fma_f64 v[10:11], v[10:11], v[24:25], -v[34:35]
	v_fma_f64 v[12:13], v[12:13], v[28:29], v[30:31]
	v_fma_f64 v[8:9], v[8:9], v[24:25], v[26:27]
	v_add_f64 v[14:15], v[2:3], -v[14:15]
	s_delay_alu instid0(VALU_DEP_4) | instskip(NEXT) | instid1(VALU_DEP_4)
	v_add_f64 v[10:11], v[6:7], -v[10:11]
	v_add_f64 v[18:19], v[0:1], -v[12:13]
	s_delay_alu instid0(VALU_DEP_4) | instskip(NEXT) | instid1(VALU_DEP_4)
	v_add_f64 v[8:9], v[4:5], -v[8:9]
	v_fma_f64 v[12:13], v[2:3], 2.0, -v[14:15]
	s_delay_alu instid0(VALU_DEP_4) | instskip(NEXT) | instid1(VALU_DEP_4)
	v_fma_f64 v[6:7], v[6:7], 2.0, -v[10:11]
	v_fma_f64 v[20:21], v[0:1], 2.0, -v[18:19]
	s_delay_alu instid0(VALU_DEP_4) | instskip(SKIP_1) | instid1(VALU_DEP_4)
	v_fma_f64 v[0:1], v[4:5], 2.0, -v[8:9]
	v_add_f64 v[2:3], v[14:15], -v[8:9]
	v_add_f64 v[6:7], v[12:13], -v[6:7]
	s_delay_alu instid0(VALU_DEP_3) | instskip(SKIP_1) | instid1(VALU_DEP_4)
	v_add_f64 v[4:5], v[20:21], -v[0:1]
	v_add_f64 v[0:1], v[18:19], v[10:11]
	v_fma_f64 v[10:11], v[14:15], 2.0, -v[2:3]
	s_delay_alu instid0(VALU_DEP_4) | instskip(NEXT) | instid1(VALU_DEP_4)
	v_fma_f64 v[14:15], v[12:13], 2.0, -v[6:7]
	v_fma_f64 v[12:13], v[20:21], 2.0, -v[4:5]
	s_delay_alu instid0(VALU_DEP_4) | instskip(SKIP_1) | instid1(VALU_DEP_1)
	v_fma_f64 v[8:9], v[18:19], 2.0, -v[0:1]
	v_lshlrev_b32_e32 v18, 2, v69
	v_and_or_b32 v18, 0xff0, v18, v75
	s_delay_alu instid0(VALU_DEP_1)
	v_lshl_add_u32 v18, v18, 4, 0
	ds_store_b128 v18, v[12:15]
	ds_store_b128 v18, v[8:11] offset:64
	ds_store_b128 v18, v[4:7] offset:128
	;; [unrolled: 1-line block ×3, first 2 shown]
.LBB0_25:
	s_or_b32 exec_lo, exec_lo, s1
	v_and_b32_e32 v24, 15, v66
	s_waitcnt lgkmcnt(0)
	s_barrier
	buffer_gl0_inv
	v_lshl_add_u32 v28, v66, 4, 0
	v_mul_u32_u24_e32 v0, 10, v24
	v_add_nc_u32_e32 v44, v71, v16
	v_add_nc_u32_e32 v45, v72, v17
	s_mov_b32 s26, 0x8eee2c13
	s_mov_b32 s4, 0xd9c712b6
	v_lshlrev_b32_e32 v0, 4, v0
	s_mov_b32 s20, 0xf8bb580b
	s_mov_b32 s27, 0xbfed1bb4
	;; [unrolled: 1-line block ×4, first 2 shown]
	s_clause 0x9
	global_load_b128 v[4:7], v0, s[8:9] offset:224
	global_load_b128 v[10:13], v0, s[8:9] offset:368
	;; [unrolled: 1-line block ×10, first 2 shown]
	ds_load_b128 v[77:80], v68
	ds_load_b128 v[81:84], v28 offset:14080
	s_mov_b32 s18, 0x640f44db
	s_mov_b32 s21, 0xbfe14ced
	;; [unrolled: 1-line block ×24, first 2 shown]
	s_waitcnt vmcnt(9) lgkmcnt(1)
	v_mul_f64 v[22:23], v[79:80], v[6:7]
	v_mul_f64 v[25:26], v[77:78], v[6:7]
	ds_load_b128 v[6:9], v65 offset:28160
	ds_load_b128 v[85:88], v67
	ds_load_b128 v[89:92], v65 offset:25344
	ds_load_b128 v[14:17], v44
	ds_load_b128 v[69:72], v65 offset:22528
	ds_load_b128 v[0:3], v65
	ds_load_b128 v[93:96], v45
	s_waitcnt vmcnt(2) lgkmcnt(7)
	v_mul_f64 v[109:110], v[83:84], v[52:53]
	v_mul_f64 v[52:53], v[81:82], v[52:53]
	s_waitcnt lgkmcnt(6)
	v_mul_f64 v[41:42], v[6:7], v[12:13]
	s_waitcnt lgkmcnt(5)
	v_mul_f64 v[58:59], v[85:86], v[20:21]
	v_mul_f64 v[103:104], v[87:88], v[20:21]
	s_waitcnt lgkmcnt(4)
	v_mul_f64 v[101:102], v[89:90], v[31:32]
	;; [unrolled: 3-line block ×4, first 2 shown]
	v_mul_f64 v[48:49], v[93:94], v[48:49]
	v_mul_f64 v[39:40], v[71:72], v[39:40]
	v_fma_f64 v[77:78], v[77:78], v[4:5], v[22:23]
	v_fma_f64 v[25:26], v[79:80], v[4:5], -v[25:26]
	v_mul_f64 v[79:80], v[14:15], v[35:36]
	v_mul_f64 v[35:36], v[16:17], v[35:36]
	ds_load_b128 v[20:23], v65 offset:19712
	ds_load_b128 v[97:100], v65 offset:16896
	s_waitcnt vmcnt(0) lgkmcnt(0)
	s_barrier
	buffer_gl0_inv
	v_fma_f64 v[4:5], v[8:9], v[10:11], -v[41:42]
	v_fma_f64 v[41:42], v[87:88], v[18:19], -v[58:59]
	v_fma_f64 v[58:59], v[85:86], v[18:19], v[103:104]
	v_mul_f64 v[111:112], v[20:21], v[56:57]
	v_mul_f64 v[56:57], v[22:23], v[56:57]
	;; [unrolled: 1-line block ×4, first 2 shown]
	v_fma_f64 v[8:9], v[91:92], v[29:30], -v[101:102]
	v_fma_f64 v[6:7], v[6:7], v[10:11], v[12:13]
	v_fma_f64 v[12:13], v[71:72], v[37:38], -v[105:106]
	v_fma_f64 v[10:11], v[89:90], v[29:30], v[31:32]
	v_fma_f64 v[31:32], v[93:94], v[46:47], v[107:108]
	v_add_f64 v[85:86], v[0:1], v[77:78]
	v_add_f64 v[87:88], v[2:3], v[25:26]
	v_fma_f64 v[79:80], v[16:17], v[33:34], -v[79:80]
	v_fma_f64 v[29:30], v[14:15], v[33:34], v[35:36]
	v_fma_f64 v[33:34], v[95:96], v[46:47], -v[48:49]
	v_fma_f64 v[35:36], v[81:82], v[50:51], v[109:110]
	v_fma_f64 v[14:15], v[69:70], v[37:38], v[39:40]
	v_fma_f64 v[37:38], v[83:84], v[50:51], -v[52:53]
	v_add_f64 v[39:40], v[25:26], -v[4:5]
	v_add_f64 v[25:26], v[25:26], v[4:5]
	v_fma_f64 v[16:17], v[22:23], v[54:55], -v[111:112]
	v_fma_f64 v[18:19], v[20:21], v[54:55], v[56:57]
	v_fma_f64 v[22:23], v[97:98], v[73:74], v[113:114]
	v_fma_f64 v[20:21], v[99:100], v[73:74], -v[75:76]
	v_add_f64 v[46:47], v[41:42], -v[8:9]
	v_add_f64 v[54:55], v[77:78], v[6:7]
	v_add_f64 v[56:57], v[77:78], -v[6:7]
	v_add_f64 v[69:70], v[58:59], v[10:11]
	v_add_f64 v[48:49], v[85:86], v[58:59]
	;; [unrolled: 1-line block ×4, first 2 shown]
	v_add_f64 v[52:53], v[79:80], -v[12:13]
	v_add_f64 v[58:59], v[58:59], -v[10:11]
	v_add_f64 v[71:72], v[79:80], v[12:13]
	v_add_f64 v[73:74], v[29:30], v[14:15]
	v_add_f64 v[75:76], v[29:30], -v[14:15]
	v_mul_f64 v[99:100], v[39:40], s[26:27]
	v_mul_f64 v[101:102], v[25:26], s[4:5]
	;; [unrolled: 1-line block ×10, first 2 shown]
	v_add_f64 v[77:78], v[33:34], -v[16:17]
	v_add_f64 v[91:92], v[33:34], v[16:17]
	v_add_f64 v[81:82], v[31:32], v[18:19]
	v_add_f64 v[93:94], v[31:32], -v[18:19]
	v_mul_f64 v[111:112], v[46:47], s[26:27]
	v_mul_f64 v[113:114], v[46:47], s[36:37]
	v_add_f64 v[83:84], v[35:36], v[22:23]
	v_add_f64 v[85:86], v[35:36], -v[22:23]
	v_add_f64 v[29:30], v[48:49], v[29:30]
	v_add_f64 v[50:51], v[50:51], v[79:80]
	v_mul_f64 v[48:49], v[46:47], s[30:31]
	v_mul_f64 v[117:118], v[41:42], s[16:17]
	;; [unrolled: 1-line block ×18, first 2 shown]
	v_add_f64 v[87:88], v[37:38], v[20:21]
	v_fma_f64 v[165:166], v[56:57], s[22:23], v[101:102]
	v_fma_f64 v[161:162], v[54:55], s[0:1], v[95:96]
	v_fma_f64 v[95:96], v[54:55], s[0:1], -v[95:96]
	v_fma_f64 v[167:168], v[56:57], s[34:35], v[105:106]
	v_fma_f64 v[163:164], v[56:57], s[10:11], v[97:98]
	;; [unrolled: 1-line block ×5, first 2 shown]
	v_fma_f64 v[107:108], v[54:55], s[16:17], -v[107:108]
	v_fma_f64 v[173:174], v[54:55], s[14:15], v[39:40]
	v_fma_f64 v[175:176], v[56:57], s[36:37], v[25:26]
	;; [unrolled: 1-line block ×4, first 2 shown]
	v_fma_f64 v[39:40], v[54:55], s[14:15], -v[39:40]
	v_fma_f64 v[25:26], v[56:57], s[24:25], v[25:26]
	v_fma_f64 v[177:178], v[69:70], s[14:15], v[113:114]
	v_fma_f64 v[113:114], v[69:70], s[14:15], -v[113:114]
	v_add_f64 v[29:30], v[29:30], v[31:32]
	v_add_f64 v[33:34], v[50:51], v[33:34]
	v_fma_f64 v[31:32], v[54:55], s[4:5], v[99:100]
	v_fma_f64 v[50:51], v[54:55], s[4:5], -v[99:100]
	v_fma_f64 v[99:100], v[56:57], s[26:27], v[101:102]
	v_fma_f64 v[101:102], v[54:55], s[18:19], v[103:104]
	v_fma_f64 v[103:104], v[54:55], s[18:19], -v[103:104]
	v_fma_f64 v[54:55], v[69:70], s[4:5], v[111:112]
	v_fma_f64 v[56:57], v[69:70], s[4:5], -v[111:112]
	v_fma_f64 v[111:112], v[69:70], s[16:17], v[48:49]
	v_fma_f64 v[183:184], v[58:59], s[38:39], v[117:118]
	v_fma_f64 v[48:49], v[69:70], s[16:17], -v[48:49]
	v_fma_f64 v[185:186], v[58:59], s[24:25], v[119:120]
	;; [unrolled: 3-line block ×3, first 2 shown]
	v_fma_f64 v[46:47], v[69:70], s[0:1], -v[46:47]
	v_fma_f64 v[69:70], v[58:59], s[22:23], v[115:116]
	v_fma_f64 v[115:116], v[58:59], s[26:27], v[115:116]
	;; [unrolled: 1-line block ×4, first 2 shown]
	v_add_f64 v[165:166], v[2:3], v[165:166]
	v_add_f64 v[161:162], v[0:1], v[161:162]
	;; [unrolled: 1-line block ×4, first 2 shown]
	v_fma_f64 v[41:42], v[58:59], s[10:11], v[41:42]
	v_add_f64 v[97:98], v[2:3], v[97:98]
	v_add_f64 v[169:170], v[0:1], v[169:170]
	;; [unrolled: 1-line block ×9, first 2 shown]
	v_fma_f64 v[121:122], v[58:59], s[34:35], v[121:122]
	v_fma_f64 v[119:120], v[58:59], s[36:37], v[119:120]
	;; [unrolled: 1-line block ×3, first 2 shown]
	v_add_f64 v[29:30], v[29:30], v[35:36]
	v_add_f64 v[33:34], v[33:34], v[37:38]
	;; [unrolled: 1-line block ×9, first 2 shown]
	v_add_f64 v[89:90], v[37:38], -v[20:21]
	v_mul_f64 v[141:142], v[77:78], s[34:35]
	v_mul_f64 v[149:150], v[91:92], s[18:19]
	v_fma_f64 v[37:38], v[73:74], s[14:15], v[125:126]
	v_fma_f64 v[25:26], v[75:76], s[24:25], v[133:134]
	v_mul_f64 v[143:144], v[77:78], s[20:21]
	v_mul_f64 v[151:152], v[91:92], s[0:1]
	v_fma_f64 v[35:36], v[73:74], s[18:19], v[123:124]
	v_fma_f64 v[58:59], v[73:74], s[18:19], -v[123:124]
	v_fma_f64 v[123:124], v[73:74], s[14:15], -v[125:126]
	v_fma_f64 v[125:126], v[73:74], s[4:5], v[127:128]
	v_fma_f64 v[39:40], v[75:76], s[36:37], v[133:134]
	v_add_f64 v[165:166], v[183:184], v[165:166]
	v_fma_f64 v[133:134], v[75:76], s[26:27], v[135:136]
	v_add_f64 v[54:55], v[54:55], v[161:162]
	v_add_f64 v[56:57], v[56:57], v[95:96]
	v_add_f64 v[167:168], v[185:186], v[167:168]
	v_mul_f64 v[139:140], v[77:78], s[30:31]
	v_mul_f64 v[145:146], v[77:78], s[24:25]
	;; [unrolled: 1-line block ×5, first 2 shown]
	v_fma_f64 v[127:128], v[73:74], s[4:5], -v[127:128]
	v_fma_f64 v[191:192], v[73:74], s[0:1], v[129:130]
	v_fma_f64 v[129:130], v[73:74], s[0:1], -v[129:130]
	v_fma_f64 v[193:194], v[73:74], s[16:17], v[52:53]
	;; [unrolled: 2-line block ×3, first 2 shown]
	v_fma_f64 v[131:132], v[75:76], s[28:29], v[131:132]
	v_add_f64 v[22:23], v[29:30], v[22:23]
	v_add_f64 v[20:21], v[33:34], v[20:21]
	;; [unrolled: 1-line block ×4, first 2 shown]
	v_fma_f64 v[29:30], v[75:76], s[10:11], v[137:138]
	v_add_f64 v[101:102], v[177:178], v[101:102]
	v_add_f64 v[97:98], v[115:116], v[97:98]
	;; [unrolled: 1-line block ×5, first 2 shown]
	v_mul_f64 v[91:92], v[91:92], s[4:5]
	v_fma_f64 v[33:34], v[75:76], s[38:39], v[71:72]
	v_add_f64 v[79:80], v[79:80], v[107:108]
	v_add_f64 v[107:108], v[181:182], v[173:174]
	;; [unrolled: 1-line block ×3, first 2 shown]
	v_fma_f64 v[71:72], v[75:76], s[30:31], v[71:72]
	v_add_f64 v[0:1], v[46:47], v[0:1]
	v_add_f64 v[2:3], v[41:42], v[2:3]
	v_fma_f64 v[137:138], v[75:76], s[20:21], v[137:138]
	v_add_f64 v[41:42], v[121:122], v[109:110]
	v_fma_f64 v[135:136], v[75:76], s[22:23], v[135:136]
	v_add_f64 v[46:47], v[119:120], v[105:106]
	v_add_f64 v[99:100], v[117:118], v[99:100]
	v_add_f64 v[69:70], v[69:70], v[163:164]
	v_mul_f64 v[157:158], v[89:90], s[10:11]
	v_mul_f64 v[95:96], v[87:88], s[0:1]
	v_fma_f64 v[50:51], v[81:82], s[18:19], v[141:142]
	v_fma_f64 v[105:106], v[93:94], s[28:29], v[149:150]
	v_add_f64 v[25:26], v[25:26], v[165:166]
	v_mul_f64 v[159:160], v[89:90], s[30:31]
	v_mul_f64 v[115:116], v[87:88], s[16:17]
	v_fma_f64 v[177:178], v[81:82], s[0:1], v[143:144]
	v_fma_f64 v[117:118], v[93:94], s[10:11], v[151:152]
	v_add_f64 v[35:36], v[35:36], v[54:55]
	v_add_f64 v[54:55], v[58:59], v[56:57]
	;; [unrolled: 1-line block ×3, first 2 shown]
	v_mul_f64 v[155:156], v[89:90], s[24:25]
	v_mul_f64 v[75:76], v[89:90], s[22:23]
	v_add_f64 v[18:19], v[22:23], v[18:19]
	v_add_f64 v[16:17], v[20:21], v[16:17]
	;; [unrolled: 1-line block ×4, first 2 shown]
	v_mul_f64 v[89:90], v[89:90], s[28:29]
	v_add_f64 v[48:49], v[125:126], v[101:102]
	v_mul_f64 v[161:162], v[87:88], s[14:15]
	v_mul_f64 v[111:112], v[87:88], s[4:5]
	;; [unrolled: 1-line block ×3, first 2 shown]
	v_fma_f64 v[183:184], v[81:82], s[16:17], v[139:140]
	v_fma_f64 v[139:140], v[81:82], s[16:17], -v[139:140]
	v_fma_f64 v[141:142], v[81:82], s[18:19], -v[141:142]
	;; [unrolled: 1-line block ×3, first 2 shown]
	v_fma_f64 v[185:186], v[81:82], s[14:15], v[145:146]
	v_fma_f64 v[145:146], v[81:82], s[14:15], -v[145:146]
	v_fma_f64 v[20:21], v[81:82], s[4:5], v[77:78]
	v_fma_f64 v[22:23], v[81:82], s[4:5], -v[77:78]
	v_fma_f64 v[81:82], v[93:94], s[30:31], v[147:148]
	v_fma_f64 v[121:122], v[93:94], s[36:37], v[153:154]
	v_add_f64 v[56:57], v[131:132], v[97:98]
	v_add_f64 v[101:102], v[191:192], v[113:114]
	v_add_f64 v[29:30], v[29:30], v[169:170]
	v_fma_f64 v[109:110], v[93:94], s[34:35], v[149:150]
	v_fma_f64 v[149:150], v[93:94], s[26:27], v[91:92]
	v_add_f64 v[97:98], v[127:128], v[103:104]
	v_add_f64 v[103:104], v[193:194], v[107:108]
	;; [unrolled: 1-line block ×3, first 2 shown]
	v_fma_f64 v[91:92], v[93:94], s[22:23], v[91:92]
	v_add_f64 v[0:1], v[52:53], v[0:1]
	v_add_f64 v[2:3], v[71:72], v[2:3]
	v_fma_f64 v[77:78], v[93:94], s[38:39], v[147:148]
	v_fma_f64 v[147:148], v[93:94], s[24:25], v[153:154]
	v_add_f64 v[79:80], v[129:130], v[79:80]
	v_add_f64 v[41:42], v[137:138], v[41:42]
	v_fma_f64 v[119:120], v[93:94], s[20:21], v[151:152]
	v_add_f64 v[46:47], v[135:136], v[46:47]
	v_add_f64 v[39:40], v[39:40], v[99:100]
	;; [unrolled: 1-line block ×5, first 2 shown]
	v_fma_f64 v[153:154], v[83:84], s[0:1], v[157:158]
	v_fma_f64 v[99:100], v[85:86], s[20:21], v[95:96]
	v_add_f64 v[31:32], v[50:51], v[31:32]
	v_add_f64 v[25:26], v[105:106], v[25:26]
	v_fma_f64 v[18:19], v[83:84], s[16:17], v[159:160]
	v_fma_f64 v[107:108], v[85:86], s[38:39], v[115:116]
	v_add_f64 v[48:49], v[177:178], v[48:49]
	v_add_f64 v[50:51], v[117:118], v[58:59]
	v_fma_f64 v[93:94], v[83:84], s[14:15], v[155:156]
	v_fma_f64 v[151:152], v[83:84], s[14:15], -v[155:156]
	v_fma_f64 v[155:156], v[83:84], s[0:1], -v[157:158]
	;; [unrolled: 1-line block ×3, first 2 shown]
	v_fma_f64 v[71:72], v[83:84], s[4:5], v[75:76]
	v_fma_f64 v[73:74], v[83:84], s[4:5], -v[75:76]
	v_fma_f64 v[75:76], v[83:84], s[18:19], v[89:90]
	v_fma_f64 v[83:84], v[83:84], s[18:19], -v[89:90]
	v_fma_f64 v[89:90], v[85:86], s[36:37], v[161:162]
	v_fma_f64 v[16:17], v[85:86], s[24:25], v[161:162]
	;; [unrolled: 1-line block ×8, first 2 shown]
	v_add_f64 v[35:36], v[183:184], v[35:36]
	v_add_f64 v[56:57], v[81:82], v[56:57]
	;; [unrolled: 1-line block ×40, first 2 shown]
	v_lshrrev_b32_e32 v4, 4, v66
	s_delay_alu instid0(VALU_DEP_1) | instskip(NEXT) | instid1(VALU_DEP_1)
	v_mul_u32_u24_e32 v4, 0xb0, v4
	v_or_b32_e32 v4, v4, v24
	s_delay_alu instid0(VALU_DEP_1)
	v_lshl_add_u32 v4, v4, 4, 0
	ds_store_b128 v4, v[12:15] offset:512
	ds_store_b128 v4, v[20:23] offset:768
	;; [unrolled: 1-line block ×10, first 2 shown]
	ds_store_b128 v4, v[54:57]
	s_waitcnt lgkmcnt(0)
	s_barrier
	buffer_gl0_inv
	s_and_saveexec_b32 s33, vcc_lo
	s_cbranch_execz .LBB0_27
; %bb.26:
	v_mul_u32_u24_e32 v0, 10, v66
	v_add_nc_u32_e32 v127, 0x160, v64
	v_mul_lo_u32 v52, s3, v62
	v_mul_lo_u32 v53, s2, v63
	v_mad_u64_u32 v[50:51], null, s2, v62, 0
	s_delay_alu instid0(VALU_DEP_4)
	v_mad_u64_u32 v[98:99], null, s12, v127, 0
	v_lshlrev_b32_e32 v12, 4, v0
	v_add_nc_u32_e32 v129, 0x2c0, v64
	s_clause 0x9
	global_load_b128 v[40:43], v12, s[8:9] offset:2784
	global_load_b128 v[24:27], v12, s[8:9] offset:2800
	;; [unrolled: 1-line block ×10, first 2 shown]
	ds_load_b128 v[46:49], v68
	ds_load_b128 v[28:31], v28 offset:14080
	ds_load_b128 v[54:57], v65 offset:16896
	;; [unrolled: 1-line block ×3, first 2 shown]
	ds_load_b128 v[72:75], v45
	ds_load_b128 v[76:79], v44
	v_mad_u64_u32 v[102:103], null, s12, v129, 0
	v_add_nc_u32_e32 v126, 0xb0, v64
	v_add_nc_u32_e32 v142, 0x580, v64
	;; [unrolled: 1-line block ×3, first 2 shown]
	v_lshlrev_b64 v[60:61], 4, v[60:61]
	v_add3_u32 v51, v51, v53, v52
	s_delay_alu instid0(VALU_DEP_1)
	v_lshlrev_b64 v[50:51], 4, v[50:51]
	s_waitcnt vmcnt(9) lgkmcnt(5)
	v_mul_f64 v[58:59], v[46:47], v[42:43]
	v_mul_f64 v[62:63], v[42:43], v[48:49]
	ds_load_b128 v[80:83], v65 offset:22528
	ds_load_b128 v[84:87], v65 offset:25344
	ds_load_b128 v[88:91], v67
	ds_load_b128 v[42:45], v65
	ds_load_b128 v[92:95], v65 offset:28160
	v_mad_u64_u32 v[65:66], null, s12, v64, 0
	s_waitcnt vmcnt(7) lgkmcnt(5)
	v_mul_f64 v[112:113], v[6:7], v[78:79]
	v_mul_f64 v[120:121], v[76:77], v[6:7]
	s_waitcnt vmcnt(2)
	v_mul_f64 v[132:133], v[68:69], v[10:11]
	s_waitcnt vmcnt(1)
	;; [unrolled: 2-line block ×3, first 2 shown]
	v_mul_f64 v[136:137], v[54:55], v[14:15]
	s_waitcnt lgkmcnt(4)
	v_mul_f64 v[114:115], v[2:3], v[82:83]
	v_mul_f64 v[122:123], v[80:81], v[2:3]
	s_waitcnt lgkmcnt(2)
	v_mul_f64 v[110:111], v[88:89], v[26:27]
	;; [unrolled: 3-line block ×3, first 2 shown]
	v_mul_f64 v[34:35], v[92:93], v[34:35]
	v_mul_f64 v[116:117], v[38:39], v[86:87]
	;; [unrolled: 1-line block ×3, first 2 shown]
	v_fma_f64 v[48:49], v[40:41], v[48:49], -v[58:59]
	v_fma_f64 v[40:41], v[40:41], v[46:47], v[62:63]
	v_mov_b32_e32 v62, v66
	v_fma_f64 v[76:77], v[4:5], v[76:77], v[112:113]
	v_fma_f64 v[78:79], v[4:5], v[78:79], -v[120:121]
	s_delay_alu instid0(VALU_DEP_3) | instskip(SKIP_2) | instid1(VALU_DEP_1)
	v_mad_u64_u32 v[66:67], null, s13, v64, v[62:63]
	v_mov_b32_e32 v67, v103
	v_mad_u64_u32 v[96:97], null, s12, v126, 0
	v_dual_mov_b32 v63, v99 :: v_dual_mov_b32 v62, v97
	s_delay_alu instid0(VALU_DEP_1) | instskip(SKIP_2) | instid1(VALU_DEP_2)
	v_mad_u64_u32 v[124:125], null, s13, v126, v[62:63]
	v_add_nc_u32_e32 v140, 0x420, v64
	v_fma_f64 v[6:7], v[36:37], v[84:85], v[116:117]
	v_mad_u64_u32 v[106:107], null, s12, v140, 0
	s_delay_alu instid0(VALU_DEP_1) | instskip(NEXT) | instid1(VALU_DEP_1)
	v_dual_mov_b32 v3, v107 :: v_dual_add_nc_u32 v128, 0x210, v64
	v_mad_u64_u32 v[100:101], null, s12, v128, 0
	v_add_nc_u32_e32 v141, 0x4d0, v64
	s_delay_alu instid0(VALU_DEP_3) | instskip(SKIP_1) | instid1(VALU_DEP_3)
	v_mad_u64_u32 v[138:139], null, s13, v140, v[3:4]
	v_fma_f64 v[4:5], v[36:37], v[86:87], -v[38:39]
	v_mad_u64_u32 v[108:109], null, s12, v141, 0
	s_delay_alu instid0(VALU_DEP_3) | instskip(NEXT) | instid1(VALU_DEP_2)
	v_dual_mov_b32 v107, v138 :: v_dual_add_nc_u32 v130, 0x370, v64
	v_mov_b32_e32 v97, v109
	s_delay_alu instid0(VALU_DEP_2) | instskip(SKIP_1) | instid1(VALU_DEP_2)
	v_mad_u64_u32 v[104:105], null, s12, v130, 0
	v_dual_mov_b32 v64, v101 :: v_dual_add_nc_u32 v143, 0x630, v64
	v_mov_b32_e32 v2, v105
	s_delay_alu instid0(VALU_DEP_2)
	v_mad_u64_u32 v[125:126], null, s13, v127, v[63:64]
	v_mad_u64_u32 v[62:63], null, s13, v128, v[64:65]
	v_fma_f64 v[63:64], v[24:25], v[90:91], -v[110:111]
	v_add_f64 v[90:91], v[44:45], v[48:49]
	v_fma_f64 v[24:25], v[24:25], v[88:89], v[26:27]
	v_add_f64 v[26:27], v[40:41], v[42:43]
	v_mov_b32_e32 v99, v125
	v_mad_u64_u32 v[58:59], null, s12, v142, 0
	v_mad_u64_u32 v[46:47], null, s12, v143, 0
	v_mov_b32_e32 v101, v62
	v_mad_u64_u32 v[52:53], null, s12, v144, 0
	v_mad_u64_u32 v[88:89], null, s13, v130, v[2:3]
	v_mul_f64 v[126:127], v[10:11], v[70:71]
	v_mul_f64 v[130:131], v[14:15], v[56:57]
	v_fma_f64 v[10:11], v[0:1], v[80:81], v[114:115]
	v_fma_f64 v[2:3], v[32:33], v[92:93], v[118:119]
	v_fma_f64 v[14:15], v[0:1], v[82:83], -v[122:123]
	v_fma_f64 v[0:1], v[32:33], v[94:95], -v[34:35]
	v_mad_u64_u32 v[32:33], null, s13, v141, v[97:98]
	v_mad_u64_u32 v[33:34], null, s13, v142, v[59:60]
	;; [unrolled: 1-line block ×5, first 2 shown]
	v_mul_f64 v[110:111], v[22:23], v[74:75]
	v_mul_f64 v[22:23], v[72:73], v[22:23]
	;; [unrolled: 1-line block ×3, first 2 shown]
	v_add_co_u32 v18, vcc_lo, s6, v50
	v_add_co_ci_u32_e32 v19, vcc_lo, s7, v51, vcc_lo
	v_mov_b32_e32 v103, v109
	s_delay_alu instid0(VALU_DEP_3)
	v_add_co_u32 v18, vcc_lo, v18, v60
	v_add_f64 v[36:37], v[63:64], v[90:91]
	v_add_f64 v[26:27], v[24:25], v[26:27]
	v_add_co_ci_u32_e32 v19, vcc_lo, v19, v61, vcc_lo
	v_mov_b32_e32 v109, v32
	v_mov_b32_e32 v97, v124
	;; [unrolled: 1-line block ×3, first 2 shown]
	v_lshlrev_b64 v[82:83], 4, v[106:107]
	v_mov_b32_e32 v47, v34
	v_lshlrev_b64 v[84:85], 4, v[108:109]
	v_mov_b32_e32 v59, v33
	v_mov_b32_e32 v53, v35
	v_fma_f64 v[50:51], v[8:9], v[68:69], v[126:127]
	v_fma_f64 v[54:55], v[12:13], v[54:55], v[130:131]
	v_fma_f64 v[8:9], v[8:9], v[70:71], -v[132:133]
	v_fma_f64 v[12:13], v[12:13], v[56:57], -v[136:137]
	v_add_f64 v[56:57], v[40:41], -v[2:3]
	v_add_f64 v[60:61], v[78:79], -v[14:15]
	;; [unrolled: 1-line block ×4, first 2 shown]
	v_add_f64 v[48:49], v[48:49], v[0:1]
	v_add_f64 v[40:41], v[40:41], v[2:3]
	v_lshlrev_b64 v[32:33], 4, v[65:66]
	v_lshlrev_b64 v[34:35], 4, v[96:97]
	v_lshlrev_b64 v[65:66], 4, v[98:99]
	v_lshlrev_b64 v[80:81], 4, v[104:105]
	v_lshlrev_b64 v[86:87], 4, v[46:47]
	v_add_f64 v[46:47], v[78:79], v[14:15]
	v_fma_f64 v[38:39], v[20:21], v[72:73], v[110:111]
	v_fma_f64 v[20:21], v[20:21], v[74:75], -v[22:23]
	v_fma_f64 v[28:29], v[16:17], v[28:29], v[128:129]
	v_fma_f64 v[16:17], v[16:17], v[30:31], -v[134:135]
	v_add_f64 v[22:23], v[76:77], -v[10:11]
	v_add_f64 v[30:31], v[24:25], -v[6:7]
	v_add_f64 v[24:25], v[24:25], v[6:7]
	v_add_f64 v[62:63], v[63:64], v[4:5]
	v_lshlrev_b64 v[73:74], 4, v[102:103]
	v_lshlrev_b64 v[71:72], 4, v[100:101]
	v_add_f64 v[36:37], v[78:79], v[36:37]
	v_add_f64 v[26:27], v[76:77], v[26:27]
	;; [unrolled: 1-line block ×3, first 2 shown]
	v_lshlrev_b64 v[58:59], 4, v[58:59]
	v_lshlrev_b64 v[52:53], 4, v[52:53]
	v_mul_f64 v[106:107], v[56:57], s[24:25]
	v_mul_f64 v[108:109], v[60:61], s[30:31]
	;; [unrolled: 1-line block ×12, first 2 shown]
	v_add_f64 v[77:78], v[38:39], -v[50:51]
	v_add_f64 v[88:89], v[20:21], -v[8:9]
	v_add_f64 v[94:95], v[20:21], v[8:9]
	v_add_f64 v[92:93], v[16:17], -v[12:13]
	v_add_f64 v[96:97], v[38:39], v[50:51]
	v_add_f64 v[98:99], v[16:17], v[12:13]
	v_mul_f64 v[104:105], v[30:31], s[10:11]
	v_mul_f64 v[120:121], v[30:31], s[34:35]
	;; [unrolled: 1-line block ×4, first 2 shown]
	v_add_f64 v[20:21], v[20:21], v[36:37]
	v_add_f64 v[26:27], v[38:39], v[26:27]
	v_mul_f64 v[36:37], v[69:70], s[20:21]
	v_mul_f64 v[38:39], v[30:31], s[30:31]
	;; [unrolled: 1-line block ×12, first 2 shown]
	v_add_f64 v[90:91], v[28:29], -v[54:55]
	v_add_f64 v[100:101], v[28:29], v[54:55]
	v_fma_f64 v[180:181], v[48:49], s[14:15], v[106:107]
	v_fma_f64 v[182:183], v[75:76], s[16:17], -v[108:109]
	v_fma_f64 v[184:185], v[24:25], s[0:1], -v[110:111]
	v_fma_f64 v[186:187], v[40:41], s[14:15], -v[112:113]
	v_fma_f64 v[106:107], v[48:49], s[14:15], -v[106:107]
	v_fma_f64 v[188:189], v[40:41], s[16:17], -v[118:119]
	v_fma_f64 v[190:191], v[48:49], s[18:19], v[124:125]
	v_fma_f64 v[124:125], v[48:49], s[18:19], -v[124:125]
	v_fma_f64 v[194:195], v[48:49], s[4:5], v[132:133]
	v_fma_f64 v[132:133], v[48:49], s[4:5], -v[132:133]
	v_fma_f64 v[198:199], v[48:49], s[0:1], v[56:57]
	v_fma_f64 v[118:119], v[40:41], s[16:17], v[118:119]
	v_fma_f64 v[192:193], v[40:41], s[18:19], -v[126:127]
	v_fma_f64 v[126:127], v[40:41], s[18:19], v[126:127]
	v_fma_f64 v[196:197], v[40:41], s[4:5], -v[134:135]
	;; [unrolled: 2-line block ×3, first 2 shown]
	v_mul_f64 v[138:139], v[60:61], s[22:23]
	v_mul_f64 v[60:61], v[60:61], s[28:29]
	v_fma_f64 v[178:179], v[62:63], s[0:1], v[104:105]
	v_fma_f64 v[206:207], v[62:63], s[14:15], v[136:137]
	v_fma_f64 v[136:137], v[62:63], s[14:15], -v[136:137]
	v_add_f64 v[16:17], v[16:17], v[20:21]
	v_fma_f64 v[20:21], v[75:76], s[16:17], v[108:109]
	v_fma_f64 v[108:109], v[24:25], s[0:1], v[110:111]
	;; [unrolled: 1-line block ×3, first 2 shown]
	v_add_f64 v[26:27], v[28:29], v[26:27]
	v_fma_f64 v[112:113], v[48:49], s[16:17], v[116:117]
	v_fma_f64 v[116:117], v[48:49], s[16:17], -v[116:117]
	v_fma_f64 v[48:49], v[48:49], s[0:1], -v[56:57]
	;; [unrolled: 1-line block ×3, first 2 shown]
	v_fma_f64 v[36:37], v[40:41], s[0:1], v[36:37]
	v_fma_f64 v[40:41], v[62:63], s[18:19], v[120:121]
	v_fma_f64 v[120:121], v[62:63], s[18:19], -v[120:121]
	v_fma_f64 v[212:213], v[62:63], s[16:17], -v[38:39]
	;; [unrolled: 1-line block ×3, first 2 shown]
	v_fma_f64 v[69:70], v[24:25], s[14:15], v[69:70]
	v_fma_f64 v[104:105], v[62:63], s[0:1], -v[104:105]
	v_add_f64 v[180:181], v[44:45], v[180:181]
	v_fma_f64 v[128:129], v[24:25], s[18:19], v[128:129]
	v_fma_f64 v[38:39], v[62:63], s[16:17], v[38:39]
	v_add_f64 v[186:187], v[42:43], v[186:187]
	v_add_f64 v[106:107], v[44:45], v[106:107]
	;; [unrolled: 1-line block ×7, first 2 shown]
	v_mul_f64 v[146:147], v[77:78], s[22:23]
	v_add_f64 v[118:119], v[42:43], v[118:119]
	v_add_f64 v[192:193], v[42:43], v[192:193]
	;; [unrolled: 1-line block ×5, first 2 shown]
	v_mul_f64 v[150:151], v[77:78], s[24:25]
	v_mul_f64 v[152:153], v[88:89], s[24:25]
	;; [unrolled: 1-line block ×5, first 2 shown]
	v_fma_f64 v[28:29], v[46:47], s[0:1], v[114:115]
	v_add_f64 v[12:13], v[12:13], v[16:17]
	v_fma_f64 v[16:17], v[62:63], s[4:5], -v[30:31]
	v_fma_f64 v[30:31], v[62:63], s[4:5], v[30:31]
	v_add_f64 v[110:111], v[42:43], v[110:111]
	v_add_f64 v[26:27], v[54:55], v[26:27]
	;; [unrolled: 1-line block ×3, first 2 shown]
	v_fma_f64 v[54:55], v[24:25], s[4:5], v[67:68]
	v_add_f64 v[48:49], v[44:45], v[48:49]
	v_add_f64 v[116:117], v[44:45], v[116:117]
	;; [unrolled: 1-line block ×5, first 2 shown]
	v_fma_f64 v[42:43], v[24:25], s[16:17], v[144:145]
	v_fma_f64 v[144:145], v[24:25], s[16:17], -v[144:145]
	v_fma_f64 v[24:25], v[24:25], s[4:5], -v[67:68]
	;; [unrolled: 1-line block ×4, first 2 shown]
	v_fma_f64 v[67:68], v[75:76], s[14:15], v[142:143]
	v_fma_f64 v[142:143], v[46:47], s[18:19], v[22:23]
	v_fma_f64 v[22:23], v[46:47], s[18:19], -v[22:23]
	v_mul_f64 v[148:149], v[88:89], s[22:23]
	v_mul_f64 v[156:157], v[88:89], s[20:21]
	;; [unrolled: 1-line block ×4, first 2 shown]
	v_fma_f64 v[176:177], v[46:47], s[16:17], v[102:103]
	v_fma_f64 v[102:103], v[46:47], s[16:17], -v[102:103]
	v_fma_f64 v[114:115], v[46:47], s[0:1], -v[114:115]
	v_fma_f64 v[204:205], v[46:47], s[4:5], v[130:131]
	v_fma_f64 v[130:131], v[46:47], s[4:5], -v[130:131]
	v_fma_f64 v[200:201], v[46:47], s[14:15], v[140:141]
	v_fma_f64 v[140:141], v[46:47], s[14:15], -v[140:141]
	v_fma_f64 v[46:47], v[75:76], s[18:19], -v[60:61]
	v_fma_f64 v[60:61], v[75:76], s[18:19], v[60:61]
	v_fma_f64 v[208:209], v[75:76], s[4:5], -v[138:139]
	v_fma_f64 v[138:139], v[75:76], s[4:5], v[138:139]
	v_fma_f64 v[122:123], v[75:76], s[0:1], v[122:123]
	v_add_f64 v[104:105], v[104:105], v[106:107]
	v_add_f64 v[118:119], v[128:129], v[118:119]
	;; [unrolled: 1-line block ×3, first 2 shown]
	v_mul_f64 v[162:163], v[90:91], s[28:29]
	v_mul_f64 v[164:165], v[92:93], s[28:29]
	v_add_f64 v[108:109], v[108:109], v[110:111]
	v_add_f64 v[12:13], v[50:51], v[26:27]
	;; [unrolled: 1-line block ×19, first 2 shown]
	v_fma_f64 v[110:111], v[96:97], s[14:15], -v[152:153]
	v_fma_f64 v[44:45], v[94:95], s[0:1], v[154:155]
	v_fma_f64 v[126:127], v[94:95], s[0:1], -v[154:155]
	v_fma_f64 v[154:155], v[94:95], s[16:17], v[77:78]
	v_fma_f64 v[77:78], v[94:95], s[16:17], -v[77:78]
	v_mul_f64 v[166:167], v[90:91], s[22:23]
	v_mul_f64 v[168:169], v[92:93], s[22:23]
	;; [unrolled: 1-line block ×8, first 2 shown]
	v_fma_f64 v[180:181], v[94:95], s[4:5], v[146:147]
	v_fma_f64 v[146:147], v[94:95], s[4:5], -v[146:147]
	v_fma_f64 v[106:107], v[94:95], s[14:15], v[150:151]
	v_add_f64 v[8:9], v[14:15], v[8:9]
	v_fma_f64 v[150:151], v[94:95], s[14:15], -v[150:151]
	v_fma_f64 v[132:133], v[94:95], s[18:19], v[158:159]
	v_fma_f64 v[136:137], v[94:95], s[18:19], -v[158:159]
	v_add_f64 v[10:11], v[10:11], v[12:13]
	v_add_f64 v[28:29], v[28:29], v[40:41]
	;; [unrolled: 1-line block ×4, first 2 shown]
	v_fma_f64 v[94:95], v[96:97], s[16:17], -v[88:89]
	v_fma_f64 v[88:89], v[96:97], s[16:17], v[88:89]
	v_add_f64 v[12:13], v[60:61], v[26:27]
	v_fma_f64 v[144:145], v[96:97], s[18:19], v[160:161]
	v_add_f64 v[20:21], v[20:21], v[108:109]
	v_add_f64 v[108:109], v[130:131], v[120:121]
	;; [unrolled: 1-line block ×4, first 2 shown]
	v_fma_f64 v[128:129], v[96:97], s[0:1], v[156:157]
	v_add_f64 v[22:23], v[138:139], v[42:43]
	v_fma_f64 v[186:187], v[96:97], s[4:5], -v[148:149]
	v_fma_f64 v[148:149], v[96:97], s[4:5], v[148:149]
	v_fma_f64 v[152:153], v[96:97], s[14:15], v[152:153]
	v_add_f64 v[102:103], v[102:103], v[104:105]
	v_add_f64 v[56:57], v[114:115], v[116:117]
	v_add_f64 v[104:105], v[122:123], v[118:119]
	v_fma_f64 v[69:70], v[96:97], s[0:1], -v[156:157]
	v_fma_f64 v[134:135], v[96:97], s[18:19], -v[160:161]
	v_fma_f64 v[96:97], v[98:99], s[18:19], v[162:163]
	v_fma_f64 v[156:157], v[100:101], s[18:19], -v[164:165]
	v_fma_f64 v[158:159], v[98:99], s[18:19], -v[162:163]
	v_fma_f64 v[160:161], v[100:101], s[18:19], v[164:165]
	v_add_f64 v[162:163], v[176:177], v[178:179]
	v_add_f64 v[164:165], v[182:183], v[184:185]
	;; [unrolled: 1-line block ×8, first 2 shown]
	v_fma_f64 v[122:123], v[98:99], s[14:15], v[90:91]
	v_fma_f64 v[124:125], v[100:101], s[14:15], -v[92:93]
	v_fma_f64 v[90:91], v[98:99], s[14:15], -v[90:91]
	v_fma_f64 v[92:93], v[100:101], s[14:15], v[92:93]
	v_fma_f64 v[46:47], v[98:99], s[4:5], v[166:167]
	v_fma_f64 v[118:119], v[100:101], s[0:1], -v[75:76]
	v_add_f64 v[40:41], v[110:111], v[40:41]
	v_add_f64 v[16:17], v[77:78], v[16:17]
	;; [unrolled: 1-line block ×5, first 2 shown]
	v_fma_f64 v[120:121], v[98:99], s[0:1], -v[174:175]
	v_fma_f64 v[75:76], v[100:101], s[0:1], v[75:76]
	v_add_f64 v[28:29], v[106:107], v[28:29]
	v_add_f64 v[106:107], v[126:127], v[108:109]
	;; [unrolled: 1-line block ×4, first 2 shown]
	v_fma_f64 v[67:68], v[98:99], s[16:17], -v[170:171]
	v_fma_f64 v[114:115], v[100:101], s[16:17], v[172:173]
	v_add_f64 v[126:127], v[128:129], v[22:23]
	v_fma_f64 v[50:51], v[98:99], s[4:5], -v[166:167]
	v_fma_f64 v[54:55], v[100:101], s[4:5], v[168:169]
	v_add_f64 v[20:21], v[148:149], v[20:21]
	v_add_f64 v[56:57], v[150:151], v[56:57]
	;; [unrolled: 1-line block ×4, first 2 shown]
	v_fma_f64 v[48:49], v[100:101], s[4:5], -v[168:169]
	v_fma_f64 v[60:61], v[98:99], s[16:17], v[170:171]
	v_fma_f64 v[62:63], v[100:101], s[16:17], -v[172:173]
	v_fma_f64 v[116:117], v[98:99], s[0:1], v[174:175]
	v_add_f64 v[98:99], v[180:181], v[162:163]
	v_add_f64 v[100:101], v[186:187], v[164:165]
	;; [unrolled: 1-line block ×8, first 2 shown]
	v_add_co_u32 v134, vcc_lo, v18, v32
	v_add_co_ci_u32_e32 v135, vcc_lo, v19, v33, vcc_lo
	v_add_co_u32 v136, vcc_lo, v18, v34
	v_add_co_ci_u32_e32 v137, vcc_lo, v19, v35, vcc_lo
	v_add_f64 v[38:39], v[0:1], v[77:78]
	v_add_f64 v[36:37], v[2:3], v[110:111]
	;; [unrolled: 1-line block ×4, first 2 shown]
	v_add_co_u32 v64, vcc_lo, v18, v65
	v_add_f64 v[14:15], v[46:47], v[28:29]
	v_add_f64 v[30:31], v[120:121], v[108:109]
	;; [unrolled: 1-line block ×4, first 2 shown]
	v_add_co_ci_u32_e32 v65, vcc_lo, v19, v66, vcc_lo
	v_add_f64 v[24:25], v[114:115], v[126:127]
	v_add_co_u32 v71, vcc_lo, v18, v71
	v_add_f64 v[8:9], v[160:161], v[20:21]
	v_add_f64 v[22:23], v[50:51], v[56:57]
	;; [unrolled: 1-line block ×5, first 2 shown]
	v_add_co_ci_u32_e32 v72, vcc_lo, v19, v72, vcc_lo
	v_add_f64 v[6:7], v[96:97], v[98:99]
	v_add_f64 v[4:5], v[156:157], v[100:101]
	;; [unrolled: 1-line block ×8, first 2 shown]
	v_add_co_u32 v16, vcc_lo, v18, v73
	v_add_co_ci_u32_e32 v17, vcc_lo, v19, v74, vcc_lo
	v_add_co_u32 v48, vcc_lo, v18, v80
	v_add_co_ci_u32_e32 v49, vcc_lo, v19, v81, vcc_lo
	;; [unrolled: 2-line block ×7, first 2 shown]
	s_clause 0xa
	global_store_b128 v[134:135], v[36:39], off
	global_store_b128 v[136:137], v[32:35], off
	;; [unrolled: 1-line block ×11, first 2 shown]
.LBB0_27:
	s_nop 0
	s_sendmsg sendmsg(MSG_DEALLOC_VGPRS)
	s_endpgm
	.section	.rodata,"a",@progbits
	.p2align	6, 0x0
	.amdhsa_kernel fft_rtc_back_len1936_factors_2_2_4_11_11_wgs_176_tpt_176_dp_op_CI_CI_sbrr_dirReg
		.amdhsa_group_segment_fixed_size 0
		.amdhsa_private_segment_fixed_size 0
		.amdhsa_kernarg_size 104
		.amdhsa_user_sgpr_count 15
		.amdhsa_user_sgpr_dispatch_ptr 0
		.amdhsa_user_sgpr_queue_ptr 0
		.amdhsa_user_sgpr_kernarg_segment_ptr 1
		.amdhsa_user_sgpr_dispatch_id 0
		.amdhsa_user_sgpr_private_segment_size 0
		.amdhsa_wavefront_size32 1
		.amdhsa_uses_dynamic_stack 0
		.amdhsa_enable_private_segment 0
		.amdhsa_system_sgpr_workgroup_id_x 1
		.amdhsa_system_sgpr_workgroup_id_y 0
		.amdhsa_system_sgpr_workgroup_id_z 0
		.amdhsa_system_sgpr_workgroup_info 0
		.amdhsa_system_vgpr_workitem_id 0
		.amdhsa_next_free_vgpr 214
		.amdhsa_next_free_sgpr 40
		.amdhsa_reserve_vcc 1
		.amdhsa_float_round_mode_32 0
		.amdhsa_float_round_mode_16_64 0
		.amdhsa_float_denorm_mode_32 3
		.amdhsa_float_denorm_mode_16_64 3
		.amdhsa_dx10_clamp 1
		.amdhsa_ieee_mode 1
		.amdhsa_fp16_overflow 0
		.amdhsa_workgroup_processor_mode 1
		.amdhsa_memory_ordered 1
		.amdhsa_forward_progress 0
		.amdhsa_shared_vgpr_count 0
		.amdhsa_exception_fp_ieee_invalid_op 0
		.amdhsa_exception_fp_denorm_src 0
		.amdhsa_exception_fp_ieee_div_zero 0
		.amdhsa_exception_fp_ieee_overflow 0
		.amdhsa_exception_fp_ieee_underflow 0
		.amdhsa_exception_fp_ieee_inexact 0
		.amdhsa_exception_int_div_zero 0
	.end_amdhsa_kernel
	.text
.Lfunc_end0:
	.size	fft_rtc_back_len1936_factors_2_2_4_11_11_wgs_176_tpt_176_dp_op_CI_CI_sbrr_dirReg, .Lfunc_end0-fft_rtc_back_len1936_factors_2_2_4_11_11_wgs_176_tpt_176_dp_op_CI_CI_sbrr_dirReg
                                        ; -- End function
	.section	.AMDGPU.csdata,"",@progbits
; Kernel info:
; codeLenInByte = 11632
; NumSgprs: 42
; NumVgprs: 214
; ScratchSize: 0
; MemoryBound: 1
; FloatMode: 240
; IeeeMode: 1
; LDSByteSize: 0 bytes/workgroup (compile time only)
; SGPRBlocks: 5
; VGPRBlocks: 26
; NumSGPRsForWavesPerEU: 42
; NumVGPRsForWavesPerEU: 214
; Occupancy: 7
; WaveLimiterHint : 1
; COMPUTE_PGM_RSRC2:SCRATCH_EN: 0
; COMPUTE_PGM_RSRC2:USER_SGPR: 15
; COMPUTE_PGM_RSRC2:TRAP_HANDLER: 0
; COMPUTE_PGM_RSRC2:TGID_X_EN: 1
; COMPUTE_PGM_RSRC2:TGID_Y_EN: 0
; COMPUTE_PGM_RSRC2:TGID_Z_EN: 0
; COMPUTE_PGM_RSRC2:TIDIG_COMP_CNT: 0
	.text
	.p2alignl 7, 3214868480
	.fill 96, 4, 3214868480
	.type	__hip_cuid_26bc7669edc88bfb,@object ; @__hip_cuid_26bc7669edc88bfb
	.section	.bss,"aw",@nobits
	.globl	__hip_cuid_26bc7669edc88bfb
__hip_cuid_26bc7669edc88bfb:
	.byte	0                               ; 0x0
	.size	__hip_cuid_26bc7669edc88bfb, 1

	.ident	"AMD clang version 19.0.0git (https://github.com/RadeonOpenCompute/llvm-project roc-6.4.0 25133 c7fe45cf4b819c5991fe208aaa96edf142730f1d)"
	.section	".note.GNU-stack","",@progbits
	.addrsig
	.addrsig_sym __hip_cuid_26bc7669edc88bfb
	.amdgpu_metadata
---
amdhsa.kernels:
  - .args:
      - .actual_access:  read_only
        .address_space:  global
        .offset:         0
        .size:           8
        .value_kind:     global_buffer
      - .offset:         8
        .size:           8
        .value_kind:     by_value
      - .actual_access:  read_only
        .address_space:  global
        .offset:         16
        .size:           8
        .value_kind:     global_buffer
      - .actual_access:  read_only
        .address_space:  global
        .offset:         24
        .size:           8
        .value_kind:     global_buffer
      - .actual_access:  read_only
        .address_space:  global
        .offset:         32
        .size:           8
        .value_kind:     global_buffer
      - .offset:         40
        .size:           8
        .value_kind:     by_value
      - .actual_access:  read_only
        .address_space:  global
        .offset:         48
        .size:           8
        .value_kind:     global_buffer
      - .actual_access:  read_only
        .address_space:  global
        .offset:         56
        .size:           8
        .value_kind:     global_buffer
      - .offset:         64
        .size:           4
        .value_kind:     by_value
      - .actual_access:  read_only
        .address_space:  global
        .offset:         72
        .size:           8
        .value_kind:     global_buffer
      - .actual_access:  read_only
        .address_space:  global
        .offset:         80
        .size:           8
        .value_kind:     global_buffer
      - .actual_access:  read_only
        .address_space:  global
        .offset:         88
        .size:           8
        .value_kind:     global_buffer
      - .actual_access:  write_only
        .address_space:  global
        .offset:         96
        .size:           8
        .value_kind:     global_buffer
    .group_segment_fixed_size: 0
    .kernarg_segment_align: 8
    .kernarg_segment_size: 104
    .language:       OpenCL C
    .language_version:
      - 2
      - 0
    .max_flat_workgroup_size: 176
    .name:           fft_rtc_back_len1936_factors_2_2_4_11_11_wgs_176_tpt_176_dp_op_CI_CI_sbrr_dirReg
    .private_segment_fixed_size: 0
    .sgpr_count:     42
    .sgpr_spill_count: 0
    .symbol:         fft_rtc_back_len1936_factors_2_2_4_11_11_wgs_176_tpt_176_dp_op_CI_CI_sbrr_dirReg.kd
    .uniform_work_group_size: 1
    .uses_dynamic_stack: false
    .vgpr_count:     214
    .vgpr_spill_count: 0
    .wavefront_size: 32
    .workgroup_processor_mode: 1
amdhsa.target:   amdgcn-amd-amdhsa--gfx1100
amdhsa.version:
  - 1
  - 2
...

	.end_amdgpu_metadata
